;; amdgpu-corpus repo=ROCm/rocFFT kind=compiled arch=gfx1201 opt=O3
	.text
	.amdgcn_target "amdgcn-amd-amdhsa--gfx1201"
	.amdhsa_code_object_version 6
	.protected	fft_rtc_back_len90_factors_3_3_10_wgs_63_tpt_9_halfLds_dp_ip_CI_unitstride_sbrr_dirReg ; -- Begin function fft_rtc_back_len90_factors_3_3_10_wgs_63_tpt_9_halfLds_dp_ip_CI_unitstride_sbrr_dirReg
	.globl	fft_rtc_back_len90_factors_3_3_10_wgs_63_tpt_9_halfLds_dp_ip_CI_unitstride_sbrr_dirReg
	.p2align	8
	.type	fft_rtc_back_len90_factors_3_3_10_wgs_63_tpt_9_halfLds_dp_ip_CI_unitstride_sbrr_dirReg,@function
fft_rtc_back_len90_factors_3_3_10_wgs_63_tpt_9_halfLds_dp_ip_CI_unitstride_sbrr_dirReg: ; @fft_rtc_back_len90_factors_3_3_10_wgs_63_tpt_9_halfLds_dp_ip_CI_unitstride_sbrr_dirReg
; %bb.0:
	s_load_b128 s[4:7], s[0:1], 0x0
	v_mul_u32_u24_e32 v1, 0x1c72, v0
	s_clause 0x1
	s_load_b64 s[8:9], s[0:1], 0x50
	s_load_b64 s[10:11], s[0:1], 0x18
	v_mov_b32_e32 v3, 0
	v_lshrrev_b32_e32 v1, 16, v1
	s_delay_alu instid0(VALU_DEP_1) | instskip(SKIP_1) | instid1(VALU_DEP_4)
	v_mad_co_u64_u32 v[6:7], null, ttmp9, 7, v[1:2]
	v_mov_b32_e32 v1, 0
	v_dual_mov_b32 v2, 0 :: v_dual_mov_b32 v7, v3
	s_delay_alu instid0(VALU_DEP_3) | instskip(SKIP_2) | instid1(VALU_DEP_3)
	v_mov_b32_e32 v4, v6
	s_wait_kmcnt 0x0
	v_cmp_lt_u64_e64 s2, s[6:7], 2
	v_mov_b32_e32 v5, v7
	s_delay_alu instid0(VALU_DEP_2)
	s_and_b32 vcc_lo, exec_lo, s2
	s_cbranch_vccnz .LBB0_8
; %bb.1:
	s_load_b64 s[2:3], s[0:1], 0x10
	v_dual_mov_b32 v1, 0 :: v_dual_mov_b32 v8, v7
	v_dual_mov_b32 v2, 0 :: v_dual_mov_b32 v7, v6
	s_add_nc_u64 s[12:13], s[10:11], 8
	s_mov_b64 s[14:15], 1
	s_wait_kmcnt 0x0
	s_add_nc_u64 s[16:17], s[2:3], 8
	s_mov_b32 s3, 0
.LBB0_2:                                ; =>This Inner Loop Header: Depth=1
	s_load_b64 s[18:19], s[16:17], 0x0
	s_wait_kmcnt 0x0
	s_delay_alu instid0(VALU_DEP_1) | instskip(NEXT) | instid1(VALU_DEP_1)
	v_or_b32_e32 v4, s19, v8
	v_cmp_ne_u64_e32 vcc_lo, 0, v[3:4]
                                        ; implicit-def: $vgpr4_vgpr5
	s_and_saveexec_b32 s2, vcc_lo
	s_wait_alu 0xfffe
	s_xor_b32 s20, exec_lo, s2
	s_cbranch_execz .LBB0_4
; %bb.3:                                ;   in Loop: Header=BB0_2 Depth=1
	s_cvt_f32_u32 s2, s18
	s_cvt_f32_u32 s21, s19
	s_sub_nc_u64 s[24:25], 0, s[18:19]
	s_wait_alu 0xfffe
	s_delay_alu instid0(SALU_CYCLE_1) | instskip(SKIP_1) | instid1(SALU_CYCLE_2)
	s_fmamk_f32 s2, s21, 0x4f800000, s2
	s_wait_alu 0xfffe
	v_s_rcp_f32 s2, s2
	s_delay_alu instid0(TRANS32_DEP_1) | instskip(SKIP_1) | instid1(SALU_CYCLE_2)
	s_mul_f32 s2, s2, 0x5f7ffffc
	s_wait_alu 0xfffe
	s_mul_f32 s21, s2, 0x2f800000
	s_wait_alu 0xfffe
	s_delay_alu instid0(SALU_CYCLE_2) | instskip(SKIP_1) | instid1(SALU_CYCLE_2)
	s_trunc_f32 s21, s21
	s_wait_alu 0xfffe
	s_fmamk_f32 s2, s21, 0xcf800000, s2
	s_cvt_u32_f32 s23, s21
	s_wait_alu 0xfffe
	s_delay_alu instid0(SALU_CYCLE_1) | instskip(SKIP_1) | instid1(SALU_CYCLE_2)
	s_cvt_u32_f32 s22, s2
	s_wait_alu 0xfffe
	s_mul_u64 s[26:27], s[24:25], s[22:23]
	s_wait_alu 0xfffe
	s_mul_hi_u32 s29, s22, s27
	s_mul_i32 s28, s22, s27
	s_mul_hi_u32 s2, s22, s26
	s_mul_i32 s30, s23, s26
	s_wait_alu 0xfffe
	s_add_nc_u64 s[28:29], s[2:3], s[28:29]
	s_mul_hi_u32 s21, s23, s26
	s_mul_hi_u32 s31, s23, s27
	s_add_co_u32 s2, s28, s30
	s_wait_alu 0xfffe
	s_add_co_ci_u32 s2, s29, s21
	s_mul_i32 s26, s23, s27
	s_add_co_ci_u32 s27, s31, 0
	s_wait_alu 0xfffe
	s_add_nc_u64 s[26:27], s[2:3], s[26:27]
	s_wait_alu 0xfffe
	v_add_co_u32 v4, s2, s22, s26
	s_delay_alu instid0(VALU_DEP_1) | instskip(SKIP_1) | instid1(VALU_DEP_1)
	s_cmp_lg_u32 s2, 0
	s_add_co_ci_u32 s23, s23, s27
	v_readfirstlane_b32 s22, v4
	s_wait_alu 0xfffe
	s_delay_alu instid0(VALU_DEP_1)
	s_mul_u64 s[24:25], s[24:25], s[22:23]
	s_wait_alu 0xfffe
	s_mul_hi_u32 s27, s22, s25
	s_mul_i32 s26, s22, s25
	s_mul_hi_u32 s2, s22, s24
	s_mul_i32 s28, s23, s24
	s_wait_alu 0xfffe
	s_add_nc_u64 s[26:27], s[2:3], s[26:27]
	s_mul_hi_u32 s21, s23, s24
	s_mul_hi_u32 s22, s23, s25
	s_wait_alu 0xfffe
	s_add_co_u32 s2, s26, s28
	s_add_co_ci_u32 s2, s27, s21
	s_mul_i32 s24, s23, s25
	s_add_co_ci_u32 s25, s22, 0
	s_wait_alu 0xfffe
	s_add_nc_u64 s[24:25], s[2:3], s[24:25]
	s_wait_alu 0xfffe
	v_add_co_u32 v9, s2, v4, s24
	s_delay_alu instid0(VALU_DEP_1) | instskip(SKIP_1) | instid1(VALU_DEP_1)
	s_cmp_lg_u32 s2, 0
	s_add_co_ci_u32 s2, s23, s25
	v_mul_hi_u32 v13, v7, v9
	s_wait_alu 0xfffe
	v_mad_co_u64_u32 v[4:5], null, v7, s2, 0
	v_mad_co_u64_u32 v[9:10], null, v8, v9, 0
	;; [unrolled: 1-line block ×3, first 2 shown]
	s_delay_alu instid0(VALU_DEP_3) | instskip(SKIP_1) | instid1(VALU_DEP_4)
	v_add_co_u32 v4, vcc_lo, v13, v4
	s_wait_alu 0xfffd
	v_add_co_ci_u32_e32 v5, vcc_lo, 0, v5, vcc_lo
	s_delay_alu instid0(VALU_DEP_2) | instskip(SKIP_1) | instid1(VALU_DEP_2)
	v_add_co_u32 v4, vcc_lo, v4, v9
	s_wait_alu 0xfffd
	v_add_co_ci_u32_e32 v4, vcc_lo, v5, v10, vcc_lo
	s_wait_alu 0xfffd
	v_add_co_ci_u32_e32 v5, vcc_lo, 0, v12, vcc_lo
	s_delay_alu instid0(VALU_DEP_2) | instskip(SKIP_1) | instid1(VALU_DEP_2)
	v_add_co_u32 v9, vcc_lo, v4, v11
	s_wait_alu 0xfffd
	v_add_co_ci_u32_e32 v10, vcc_lo, 0, v5, vcc_lo
	s_delay_alu instid0(VALU_DEP_2) | instskip(SKIP_1) | instid1(VALU_DEP_3)
	v_mul_lo_u32 v11, s19, v9
	v_mad_co_u64_u32 v[4:5], null, s18, v9, 0
	v_mul_lo_u32 v12, s18, v10
	s_delay_alu instid0(VALU_DEP_2) | instskip(NEXT) | instid1(VALU_DEP_2)
	v_sub_co_u32 v4, vcc_lo, v7, v4
	v_add3_u32 v5, v5, v12, v11
	s_delay_alu instid0(VALU_DEP_1) | instskip(SKIP_1) | instid1(VALU_DEP_1)
	v_sub_nc_u32_e32 v11, v8, v5
	s_wait_alu 0xfffd
	v_subrev_co_ci_u32_e64 v11, s2, s19, v11, vcc_lo
	v_add_co_u32 v12, s2, v9, 2
	s_wait_alu 0xf1ff
	v_add_co_ci_u32_e64 v13, s2, 0, v10, s2
	v_sub_co_u32 v14, s2, v4, s18
	v_sub_co_ci_u32_e32 v5, vcc_lo, v8, v5, vcc_lo
	s_wait_alu 0xf1ff
	v_subrev_co_ci_u32_e64 v11, s2, 0, v11, s2
	s_delay_alu instid0(VALU_DEP_3) | instskip(NEXT) | instid1(VALU_DEP_3)
	v_cmp_le_u32_e32 vcc_lo, s18, v14
	v_cmp_eq_u32_e64 s2, s19, v5
	s_wait_alu 0xfffd
	v_cndmask_b32_e64 v14, 0, -1, vcc_lo
	v_cmp_le_u32_e32 vcc_lo, s19, v11
	s_wait_alu 0xfffd
	v_cndmask_b32_e64 v15, 0, -1, vcc_lo
	v_cmp_le_u32_e32 vcc_lo, s18, v4
	;; [unrolled: 3-line block ×3, first 2 shown]
	s_wait_alu 0xfffd
	v_cndmask_b32_e64 v16, 0, -1, vcc_lo
	v_cmp_eq_u32_e32 vcc_lo, s19, v11
	s_wait_alu 0xf1ff
	s_delay_alu instid0(VALU_DEP_2)
	v_cndmask_b32_e64 v4, v16, v4, s2
	s_wait_alu 0xfffd
	v_cndmask_b32_e32 v11, v15, v14, vcc_lo
	v_add_co_u32 v14, vcc_lo, v9, 1
	s_wait_alu 0xfffd
	v_add_co_ci_u32_e32 v15, vcc_lo, 0, v10, vcc_lo
	s_delay_alu instid0(VALU_DEP_3) | instskip(SKIP_2) | instid1(VALU_DEP_3)
	v_cmp_ne_u32_e32 vcc_lo, 0, v11
	s_wait_alu 0xfffd
	v_cndmask_b32_e32 v11, v14, v12, vcc_lo
	v_cndmask_b32_e32 v5, v15, v13, vcc_lo
	v_cmp_ne_u32_e32 vcc_lo, 0, v4
	s_wait_alu 0xfffd
	s_delay_alu instid0(VALU_DEP_2)
	v_dual_cndmask_b32 v4, v9, v11 :: v_dual_cndmask_b32 v5, v10, v5
.LBB0_4:                                ;   in Loop: Header=BB0_2 Depth=1
	s_wait_alu 0xfffe
	s_and_not1_saveexec_b32 s2, s20
	s_cbranch_execz .LBB0_6
; %bb.5:                                ;   in Loop: Header=BB0_2 Depth=1
	v_cvt_f32_u32_e32 v4, s18
	s_sub_co_i32 s20, 0, s18
	s_delay_alu instid0(VALU_DEP_1) | instskip(NEXT) | instid1(TRANS32_DEP_1)
	v_rcp_iflag_f32_e32 v4, v4
	v_mul_f32_e32 v4, 0x4f7ffffe, v4
	s_delay_alu instid0(VALU_DEP_1) | instskip(SKIP_1) | instid1(VALU_DEP_1)
	v_cvt_u32_f32_e32 v4, v4
	s_wait_alu 0xfffe
	v_mul_lo_u32 v5, s20, v4
	s_delay_alu instid0(VALU_DEP_1) | instskip(NEXT) | instid1(VALU_DEP_1)
	v_mul_hi_u32 v5, v4, v5
	v_add_nc_u32_e32 v4, v4, v5
	s_delay_alu instid0(VALU_DEP_1) | instskip(NEXT) | instid1(VALU_DEP_1)
	v_mul_hi_u32 v4, v7, v4
	v_mul_lo_u32 v5, v4, s18
	v_add_nc_u32_e32 v9, 1, v4
	s_delay_alu instid0(VALU_DEP_2) | instskip(NEXT) | instid1(VALU_DEP_1)
	v_sub_nc_u32_e32 v5, v7, v5
	v_subrev_nc_u32_e32 v10, s18, v5
	v_cmp_le_u32_e32 vcc_lo, s18, v5
	s_wait_alu 0xfffd
	s_delay_alu instid0(VALU_DEP_2) | instskip(NEXT) | instid1(VALU_DEP_1)
	v_dual_cndmask_b32 v5, v5, v10 :: v_dual_cndmask_b32 v4, v4, v9
	v_cmp_le_u32_e32 vcc_lo, s18, v5
	v_mov_b32_e32 v5, v3
	s_delay_alu instid0(VALU_DEP_3) | instskip(SKIP_1) | instid1(VALU_DEP_1)
	v_add_nc_u32_e32 v9, 1, v4
	s_wait_alu 0xfffd
	v_cndmask_b32_e32 v4, v4, v9, vcc_lo
.LBB0_6:                                ;   in Loop: Header=BB0_2 Depth=1
	s_wait_alu 0xfffe
	s_or_b32 exec_lo, exec_lo, s2
	s_load_b64 s[20:21], s[12:13], 0x0
	v_mul_lo_u32 v11, v5, s18
	v_mul_lo_u32 v12, v4, s19
	v_mad_co_u64_u32 v[9:10], null, v4, s18, 0
	s_add_nc_u64 s[14:15], s[14:15], 1
	s_add_nc_u64 s[12:13], s[12:13], 8
	s_wait_alu 0xfffe
	v_cmp_ge_u64_e64 s2, s[14:15], s[6:7]
	s_add_nc_u64 s[16:17], s[16:17], 8
	s_delay_alu instid0(VALU_DEP_2) | instskip(NEXT) | instid1(VALU_DEP_3)
	v_add3_u32 v10, v10, v12, v11
	v_sub_co_u32 v7, vcc_lo, v7, v9
	s_wait_alu 0xfffd
	s_delay_alu instid0(VALU_DEP_2) | instskip(SKIP_3) | instid1(VALU_DEP_2)
	v_sub_co_ci_u32_e32 v8, vcc_lo, v8, v10, vcc_lo
	s_and_b32 vcc_lo, exec_lo, s2
	s_wait_kmcnt 0x0
	v_mul_lo_u32 v9, s21, v7
	v_mul_lo_u32 v8, s20, v8
	v_mad_co_u64_u32 v[1:2], null, s20, v7, v[1:2]
	s_delay_alu instid0(VALU_DEP_1)
	v_add3_u32 v2, v9, v2, v8
	s_wait_alu 0xfffe
	s_cbranch_vccnz .LBB0_8
; %bb.7:                                ;   in Loop: Header=BB0_2 Depth=1
	v_dual_mov_b32 v8, v5 :: v_dual_mov_b32 v7, v4
	s_branch .LBB0_2
.LBB0_8:
	s_lshl_b64 s[2:3], s[6:7], 3
	v_mul_hi_u32 v3, 0x1c71c71d, v0
	s_wait_alu 0xfffe
	s_add_nc_u64 s[2:3], s[10:11], s[2:3]
	v_mov_b32_e32 v70, 0
	s_load_b64 s[2:3], s[2:3], 0x0
	s_load_b64 s[0:1], s[0:1], 0x20
                                        ; implicit-def: $vgpr54_vgpr55
                                        ; implicit-def: $vgpr50_vgpr51
                                        ; implicit-def: $vgpr42_vgpr43
                                        ; implicit-def: $vgpr26_vgpr27
                                        ; implicit-def: $vgpr34_vgpr35
                                        ; implicit-def: $vgpr30_vgpr31
                                        ; implicit-def: $vgpr18_vgpr19
                                        ; implicit-def: $vgpr38_vgpr39
                                        ; implicit-def: $vgpr22_vgpr23
                                        ; implicit-def: $vgpr14_vgpr15
                                        ; implicit-def: $vgpr46_vgpr47
	s_delay_alu instid0(VALU_DEP_2) | instskip(NEXT) | instid1(VALU_DEP_1)
	v_mul_u32_u24_e32 v3, 9, v3
	v_sub_nc_u32_e32 v71, v0, v3
	s_wait_kmcnt 0x0
	v_mul_lo_u32 v7, s2, v5
	v_mul_lo_u32 v8, s3, v4
	v_mad_co_u64_u32 v[1:2], null, s2, v4, v[1:2]
	v_cmp_gt_u64_e32 vcc_lo, s[0:1], v[4:5]
                                        ; implicit-def: $vgpr4_vgpr5
	s_delay_alu instid0(VALU_DEP_2) | instskip(NEXT) | instid1(VALU_DEP_1)
	v_add3_u32 v2, v8, v2, v7
	v_lshlrev_b64_e32 v[68:69], 4, v[1:2]
	s_and_saveexec_b32 s1, vcc_lo
	s_cbranch_execz .LBB0_12
; %bb.9:
	v_mov_b32_e32 v72, 0
	s_delay_alu instid0(VALU_DEP_2) | instskip(SKIP_2) | instid1(VALU_DEP_3)
	v_add_co_u32 v2, s0, s8, v68
	s_wait_alu 0xf1ff
	v_add_co_ci_u32_e64 v3, s0, s9, v69, s0
	v_lshlrev_b64_e32 v[0:1], 4, v[71:72]
	s_mov_b32 s2, exec_lo
                                        ; implicit-def: $vgpr40_vgpr41
                                        ; implicit-def: $vgpr48_vgpr49
                                        ; implicit-def: $vgpr52_vgpr53
	s_delay_alu instid0(VALU_DEP_1) | instskip(SKIP_1) | instid1(VALU_DEP_2)
	v_add_co_u32 v0, s0, v2, v0
	s_wait_alu 0xf1ff
	v_add_co_ci_u32_e64 v1, s0, v3, v1, s0
	s_clause 0x8
	global_load_b128 v[2:5], v[0:1], off
	global_load_b128 v[20:23], v[0:1], off offset:144
	global_load_b128 v[12:15], v[0:1], off offset:960
	global_load_b128 v[16:19], v[0:1], off offset:1104
	global_load_b128 v[44:47], v[0:1], off offset:480
	global_load_b128 v[28:31], v[0:1], off offset:288
	global_load_b128 v[36:39], v[0:1], off offset:624
	global_load_b128 v[32:35], v[0:1], off offset:768
	global_load_b128 v[24:27], v[0:1], off offset:1248
	v_cmpx_gt_u32_e32 3, v71
; %bb.10:
	s_clause 0x2
	global_load_b128 v[40:43], v[0:1], off offset:432
	global_load_b128 v[48:51], v[0:1], off offset:912
	;; [unrolled: 1-line block ×3, first 2 shown]
; %bb.11:
	s_wait_alu 0xfffe
	s_or_b32 exec_lo, exec_lo, s2
	v_mov_b32_e32 v70, v71
.LBB0_12:
	s_wait_alu 0xfffe
	s_or_b32 exec_lo, exec_lo, s1
	s_wait_loadcnt 0x4
	v_add_f64_e32 v[0:1], v[12:13], v[44:45]
	s_wait_loadcnt 0x0
	v_add_f64_e32 v[9:10], v[24:25], v[32:33]
	v_add_f64_e32 v[56:57], v[52:53], v[48:49]
	;; [unrolled: 1-line block ×4, first 2 shown]
	v_add_f64_e64 v[60:61], v[46:47], -v[14:15]
	v_add_f64_e32 v[62:63], v[36:37], v[20:21]
	v_add_f64_e32 v[64:65], v[32:33], v[28:29]
	;; [unrolled: 1-line block ×3, first 2 shown]
	v_add_f64_e64 v[72:73], v[38:39], -v[18:19]
	s_mov_b32 s0, 0xe8584caa
	s_mov_b32 s1, 0xbfebb67a
	;; [unrolled: 1-line block ×3, first 2 shown]
	s_wait_alu 0xfffe
	s_mov_b32 s2, s0
	v_fma_f64 v[2:3], v[0:1], -0.5, v[2:3]
	v_fma_f64 v[9:10], v[9:10], -0.5, v[28:29]
	v_add_f64_e64 v[28:29], v[50:51], -v[54:55]
	v_fma_f64 v[40:41], v[56:57], -0.5, v[40:41]
	v_fma_f64 v[7:8], v[7:8], -0.5, v[20:21]
	v_add_f64_e64 v[20:21], v[34:35], -v[26:27]
	v_mul_hi_u32 v0, 0x24924925, v6
	v_add_f64_e32 v[56:57], v[12:13], v[58:59]
	v_add_f64_e32 v[58:59], v[16:17], v[62:63]
	;; [unrolled: 1-line block ×3, first 2 shown]
	s_delay_alu instid0(VALU_DEP_4) | instskip(NEXT) | instid1(VALU_DEP_1)
	v_sub_nc_u32_e32 v1, v6, v0
	v_lshrrev_b32_e32 v1, 1, v1
	s_delay_alu instid0(VALU_DEP_1)
	v_add_nc_u32_e32 v11, v1, v0
	v_add_f64_e32 v[0:1], v[52:53], v[66:67]
	v_fma_f64 v[64:65], v[60:61], s[0:1], v[2:3]
	s_wait_alu 0xfffe
	v_fma_f64 v[60:61], v[60:61], s[2:3], v[2:3]
	v_fma_f64 v[2:3], v[28:29], s[0:1], v[40:41]
	;; [unrolled: 1-line block ×7, first 2 shown]
	v_lshrrev_b32_e32 v7, 2, v11
	v_mad_u32_u24 v10, v71, 24, 0
	v_cmp_gt_u32_e64 s0, 3, v71
	s_delay_alu instid0(VALU_DEP_3) | instskip(NEXT) | instid1(VALU_DEP_1)
	v_mul_lo_u32 v7, v7, 7
	v_sub_nc_u32_e32 v6, v6, v7
	s_delay_alu instid0(VALU_DEP_4) | instskip(NEXT) | instid1(VALU_DEP_2)
	v_add_nc_u32_e32 v7, 0x1b0, v10
	v_mul_u32_u24_e32 v6, 0x5a, v6
	s_delay_alu instid0(VALU_DEP_1) | instskip(NEXT) | instid1(VALU_DEP_1)
	v_lshlrev_b32_e32 v74, 3, v6
	v_add_nc_u32_e32 v21, v10, v74
	s_delay_alu instid0(VALU_DEP_4)
	v_add_nc_u32_e32 v20, v7, v74
	ds_store_2addr_b64 v21, v[56:57], v[64:65] offset1:1
	ds_store_2addr_b64 v21, v[58:59], v[66:67] offset0:27 offset1:28
	ds_store_2addr_b64 v21, v[60:61], v[72:73] offset0:2 offset1:29
	ds_store_2addr_b64 v20, v[62:63], v[75:76] offset1:1
	ds_store_b64 v20, v[8:9] offset:16
	s_and_saveexec_b32 s1, s0
	s_cbranch_execz .LBB0_14
; %bb.13:
	v_lshl_add_u32 v6, v6, 3, v7
	ds_store_2addr_b64 v6, v[0:1], v[2:3] offset0:27 offset1:28
	ds_store_b64 v6, v[28:29] offset:232
.LBB0_14:
	s_wait_alu 0xfffe
	s_or_b32 exec_lo, exec_lo, s1
	v_lshlrev_b32_e32 v6, 3, v71
	global_wb scope:SCOPE_SE
	s_wait_dscnt 0x0
	s_barrier_signal -1
	s_barrier_wait -1
	global_inv scope:SCOPE_SE
	v_add3_u32 v73, 0, v74, v6
	v_add3_u32 v72, 0, v6, v74
	v_add_nc_u32_e32 v75, 0xd8, v21
	ds_load_b64 v[40:41], v73
	ds_load_2addr_b64 v[64:67], v72 offset0:30 offset1:39
	ds_load_2addr_b64 v[60:63], v72 offset0:48 offset1:60
	;; [unrolled: 1-line block ×4, first 2 shown]
	s_and_saveexec_b32 s1, s0
	s_cbranch_execz .LBB0_16
; %bb.15:
	ds_load_2addr_b64 v[0:3], v72 offset0:27 offset1:57
	ds_load_b64 v[28:29], v72 offset:696
.LBB0_16:
	s_wait_alu 0xfffe
	s_or_b32 exec_lo, exec_lo, s1
	v_add_f64_e32 v[6:7], v[14:15], v[46:47]
	v_add_f64_e32 v[80:81], v[54:55], v[50:51]
	;; [unrolled: 1-line block ×5, first 2 shown]
	v_add_f64_e64 v[12:13], v[44:45], -v[12:13]
	v_add_f64_e32 v[38:39], v[38:39], v[22:23]
	v_add_f64_e32 v[44:45], v[50:51], v[42:43]
	v_add_f64_e64 v[16:17], v[36:37], -v[16:17]
	v_add_f64_e64 v[24:25], v[32:33], -v[24:25]
	;; [unrolled: 1-line block ×3, first 2 shown]
	v_add_f64_e32 v[34:35], v[34:35], v[30:31]
	s_mov_b32 s2, 0xe8584caa
	s_mov_b32 s3, 0x3febb67a
	;; [unrolled: 1-line block ×3, first 2 shown]
	s_wait_alu 0xfffe
	s_mov_b32 s6, s2
	global_wb scope:SCOPE_SE
	s_wait_dscnt 0x0
	s_barrier_signal -1
	s_barrier_wait -1
	global_inv scope:SCOPE_SE
	v_fma_f64 v[6:7], v[6:7], -0.5, v[4:5]
	v_fma_f64 v[36:37], v[80:81], -0.5, v[42:43]
	v_fma_f64 v[22:23], v[76:77], -0.5, v[22:23]
	v_fma_f64 v[30:31], v[78:79], -0.5, v[30:31]
	v_add_f64_e32 v[14:15], v[14:15], v[46:47]
	v_add_f64_e32 v[18:19], v[18:19], v[38:39]
	;; [unrolled: 1-line block ×4, first 2 shown]
	v_add_nc_u32_e32 v34, 27, v71
	v_fma_f64 v[38:39], v[12:13], s[2:3], v[6:7]
	s_wait_alu 0xfffe
	v_fma_f64 v[12:13], v[12:13], s[6:7], v[6:7]
	v_fma_f64 v[6:7], v[32:33], s[2:3], v[36:37]
	;; [unrolled: 1-line block ×7, first 2 shown]
	ds_store_2addr_b64 v21, v[14:15], v[38:39] offset1:1
	ds_store_b64 v21, v[12:13] offset:16
	ds_store_2addr_b64 v75, v[18:19], v[42:43] offset1:1
	ds_store_b64 v75, v[16:17] offset:16
	;; [unrolled: 2-line block ×3, first 2 shown]
	s_and_saveexec_b32 s1, s0
	s_cbranch_execz .LBB0_18
; %bb.17:
	v_mul_u32_u24_e32 v12, 24, v34
	s_delay_alu instid0(VALU_DEP_1)
	v_add3_u32 v12, 0, v12, v74
	ds_store_2addr_b64 v12, v[4:5], v[6:7] offset1:1
	ds_store_b64 v12, v[32:33] offset:16
.LBB0_18:
	s_wait_alu 0xfffe
	s_or_b32 exec_lo, exec_lo, s1
	global_wb scope:SCOPE_SE
	s_wait_dscnt 0x0
	s_barrier_signal -1
	s_barrier_wait -1
	global_inv scope:SCOPE_SE
	ds_load_b64 v[30:31], v73
	ds_load_2addr_b64 v[24:27], v72 offset0:30 offset1:39
	ds_load_2addr_b64 v[20:23], v72 offset0:48 offset1:60
	;; [unrolled: 1-line block ×4, first 2 shown]
	s_and_saveexec_b32 s1, s0
	s_cbranch_execz .LBB0_20
; %bb.19:
	ds_load_2addr_b64 v[4:7], v72 offset0:27 offset1:57
	ds_load_b64 v[32:33], v72 offset:696
.LBB0_20:
	s_wait_alu 0xfffe
	s_or_b32 exec_lo, exec_lo, s1
	v_add_nc_u16 v35, v71, 9
	v_and_b32_e32 v36, 0xff, v71
	v_add_nc_u16 v37, v71, 18
	s_mov_b32 s2, 0xe8584caa
	s_mov_b32 s3, 0xbfebb67a
	v_and_b32_e32 v38, 0xff, v35
	v_mul_lo_u16 v36, 0xab, v36
	v_and_b32_e32 v39, 0xff, v37
	s_mov_b32 s7, 0x3febb67a
	s_wait_alu 0xfffe
	s_mov_b32 s6, s2
	v_mul_lo_u16 v38, 0xab, v38
	v_lshrrev_b16 v93, 9, v36
	v_mul_lo_u16 v36, 0xab, v39
	s_delay_alu instid0(VALU_DEP_3) | instskip(NEXT) | instid1(VALU_DEP_3)
	v_lshrrev_b16 v94, 9, v38
	v_mul_lo_u16 v38, v93, 3
	s_delay_alu instid0(VALU_DEP_3) | instskip(NEXT) | instid1(VALU_DEP_3)
	;; [unrolled: 3-line block ×3, first 2 shown]
	v_sub_nc_u16 v38, v71, v38
	v_mul_lo_u16 v39, v95, 3
	s_delay_alu instid0(VALU_DEP_3) | instskip(NEXT) | instid1(VALU_DEP_3)
	v_sub_nc_u16 v35, v35, v36
	v_and_b32_e32 v96, 0xff, v38
	s_delay_alu instid0(VALU_DEP_3) | instskip(NEXT) | instid1(VALU_DEP_3)
	v_sub_nc_u16 v36, v37, v39
	v_and_b32_e32 v97, 0xff, v35
	s_delay_alu instid0(VALU_DEP_3) | instskip(NEXT) | instid1(VALU_DEP_3)
	v_lshlrev_b32_e32 v35, 5, v96
	v_and_b32_e32 v98, 0xff, v36
	s_delay_alu instid0(VALU_DEP_3)
	v_lshlrev_b32_e32 v42, 5, v97
	global_load_b128 v[36:39], v35, s[4:5]
	v_lshlrev_b32_e32 v43, 5, v98
	s_clause 0x4
	global_load_b128 v[48:51], v42, s[4:5]
	global_load_b128 v[52:55], v35, s[4:5] offset:16
	global_load_b128 v[75:78], v43, s[4:5]
	global_load_b128 v[79:82], v42, s[4:5] offset:16
	global_load_b128 v[83:86], v43, s[4:5] offset:16
	v_and_b32_e32 v35, 0xff, v34
	s_delay_alu instid0(VALU_DEP_1) | instskip(NEXT) | instid1(VALU_DEP_1)
	v_mul_lo_u16 v35, 0xab, v35
	v_lshrrev_b16 v35, 9, v35
	s_delay_alu instid0(VALU_DEP_1) | instskip(NEXT) | instid1(VALU_DEP_1)
	v_mul_lo_u16 v35, v35, 3
	v_sub_nc_u16 v34, v34, v35
	s_delay_alu instid0(VALU_DEP_1) | instskip(NEXT) | instid1(VALU_DEP_1)
	v_and_b32_e32 v99, 0xff, v34
	v_lshlrev_b32_e32 v100, 5, v99
	s_wait_loadcnt_dscnt 0x503
	v_mul_f64_e32 v[42:43], v[24:25], v[38:39]
	v_mul_f64_e32 v[38:39], v[64:65], v[38:39]
	s_wait_loadcnt 0x4
	v_mul_f64_e32 v[44:45], v[26:27], v[50:51]
	s_wait_loadcnt_dscnt 0x302
	v_mul_f64_e32 v[46:47], v[22:23], v[54:55]
	s_wait_loadcnt 0x2
	v_mul_f64_e32 v[87:88], v[20:21], v[77:78]
	s_wait_loadcnt_dscnt 0x100
	v_mul_f64_e32 v[89:90], v[16:17], v[81:82]
	s_wait_loadcnt 0x0
	v_mul_f64_e32 v[91:92], v[18:19], v[85:86]
	v_mul_f64_e32 v[50:51], v[66:67], v[50:51]
	v_fma_f64 v[34:35], v[64:65], v[36:37], v[42:43]
	v_fma_f64 v[24:25], v[24:25], v[36:37], -v[38:39]
	v_mul_f64_e32 v[64:65], v[62:63], v[54:55]
	v_fma_f64 v[36:37], v[66:67], v[48:49], v[44:45]
	v_mul_f64_e32 v[66:67], v[60:61], v[77:78]
	v_mul_f64_e32 v[77:78], v[56:57], v[81:82]
	v_fma_f64 v[46:47], v[62:63], v[52:53], v[46:47]
	v_fma_f64 v[38:39], v[60:61], v[75:76], v[87:88]
	;; [unrolled: 1-line block ×4, first 2 shown]
	global_load_b128 v[54:57], v100, s[4:5]
	v_mul_f64_e32 v[62:63], v[58:59], v[85:86]
	global_load_b128 v[58:61], v100, s[4:5] offset:16
	v_fma_f64 v[26:27], v[26:27], v[48:49], -v[50:51]
	global_wb scope:SCOPE_SE
	s_wait_loadcnt 0x0
	s_barrier_signal -1
	s_barrier_wait -1
	global_inv scope:SCOPE_SE
	v_fma_f64 v[22:23], v[22:23], v[52:53], -v[64:65]
	v_fma_f64 v[20:21], v[20:21], v[75:76], -v[66:67]
	;; [unrolled: 1-line block ×3, first 2 shown]
	v_add_f64_e32 v[48:49], v[34:35], v[46:47]
	v_add_f64_e32 v[66:67], v[40:41], v[34:35]
	;; [unrolled: 1-line block ×5, first 2 shown]
	v_fma_f64 v[18:19], v[18:19], v[83:84], -v[62:63]
	v_add_f64_e32 v[77:78], v[8:9], v[36:37]
	v_add_f64_e64 v[75:76], v[24:25], -v[22:23]
	v_add_f64_e64 v[83:84], v[26:27], -v[16:17]
	v_fma_f64 v[81:82], v[48:49], -0.5, v[40:41]
	v_fma_f64 v[8:9], v[50:51], -0.5, v[8:9]
	;; [unrolled: 1-line block ×3, first 2 shown]
	v_add_f64_e64 v[50:51], v[20:21], -v[18:19]
	v_mul_f64_e32 v[62:63], v[6:7], v[56:57]
	v_mul_f64_e32 v[56:57], v[2:3], v[56:57]
	;; [unrolled: 1-line block ×4, first 2 shown]
	s_wait_alu 0xfffe
	v_fma_f64 v[60:61], v[75:76], s[6:7], v[81:82]
	v_fma_f64 v[48:49], v[2:3], v[54:55], v[62:63]
	v_fma_f64 v[40:41], v[6:7], v[54:55], -v[56:57]
	v_fma_f64 v[28:29], v[28:29], v[58:59], v[64:65]
	v_add_f64_e32 v[2:3], v[66:67], v[46:47]
	v_fma_f64 v[56:57], v[75:76], s[2:3], v[81:82]
	v_fma_f64 v[32:33], v[32:33], v[58:59], -v[52:53]
	v_add_f64_e32 v[6:7], v[77:78], v[44:45]
	v_fma_f64 v[62:63], v[83:84], s[2:3], v[8:9]
	v_fma_f64 v[8:9], v[83:84], s[6:7], v[8:9]
	v_add_f64_e32 v[54:55], v[79:80], v[42:43]
	v_fma_f64 v[64:65], v[50:51], s[2:3], v[10:11]
	v_fma_f64 v[10:11], v[50:51], s[6:7], v[10:11]
	v_and_b32_e32 v50, 0xffff, v93
	v_and_b32_e32 v51, 0xffff, v94
	;; [unrolled: 1-line block ×3, first 2 shown]
	v_lshlrev_b32_e32 v58, 3, v96
	s_delay_alu instid0(VALU_DEP_4) | instskip(NEXT) | instid1(VALU_DEP_4)
	v_mad_u32_u24 v53, 0x48, v50, 0
	v_mad_u32_u24 v59, 0x48, v51, 0
	s_delay_alu instid0(VALU_DEP_4) | instskip(SKIP_4) | instid1(VALU_DEP_4)
	v_mad_u32_u24 v66, 0x48, v52, 0
	v_lshlrev_b32_e32 v52, 3, v97
	v_lshlrev_b32_e32 v50, 3, v99
	v_add3_u32 v51, v53, v58, v74
	v_lshlrev_b32_e32 v53, 3, v98
	v_add3_u32 v52, v59, v52, v74
	s_delay_alu instid0(VALU_DEP_2)
	v_add3_u32 v53, v66, v53, v74
	ds_store_2addr_b64 v51, v[2:3], v[56:57] offset1:3
	ds_store_b64 v51, v[60:61] offset:48
	ds_store_2addr_b64 v52, v[6:7], v[62:63] offset1:3
	ds_store_b64 v52, v[8:9] offset:48
	;; [unrolled: 2-line block ×3, first 2 shown]
	s_and_saveexec_b32 s1, s0
	s_cbranch_execz .LBB0_22
; %bb.21:
	v_add_f64_e32 v[2:3], v[48:49], v[28:29]
	v_add_f64_e64 v[6:7], v[40:41], -v[32:33]
	v_add_f64_e32 v[8:9], v[0:1], v[48:49]
	s_delay_alu instid0(VALU_DEP_3) | instskip(NEXT) | instid1(VALU_DEP_2)
	v_fma_f64 v[0:1], v[2:3], -0.5, v[0:1]
	v_add_f64_e32 v[2:3], v[8:9], v[28:29]
	s_delay_alu instid0(VALU_DEP_2)
	v_fma_f64 v[8:9], v[6:7], s[2:3], v[0:1]
	v_fma_f64 v[0:1], v[6:7], s[6:7], v[0:1]
	v_add3_u32 v6, 0, v50, v74
	ds_store_2addr_b64 v6, v[2:3], v[8:9] offset0:81 offset1:84
	ds_store_b64 v6, v[0:1] offset:696
.LBB0_22:
	s_wait_alu 0xfffe
	s_or_b32 exec_lo, exec_lo, s1
	v_add_f64_e32 v[0:1], v[24:25], v[22:23]
	v_add_f64_e32 v[2:3], v[26:27], v[16:17]
	;; [unrolled: 1-line block ×4, first 2 shown]
	v_add_f64_e64 v[10:11], v[34:35], -v[46:47]
	v_add_f64_e32 v[24:25], v[12:13], v[26:27]
	v_add_f64_e64 v[26:27], v[36:37], -v[44:45]
	v_add_f64_e32 v[20:21], v[14:15], v[20:21]
	global_wb scope:SCOPE_SE
	s_wait_dscnt 0x0
	s_barrier_signal -1
	s_barrier_wait -1
	global_inv scope:SCOPE_SE
	v_fma_f64 v[0:1], v[0:1], -0.5, v[30:31]
	v_fma_f64 v[2:3], v[2:3], -0.5, v[12:13]
	v_add_f64_e64 v[12:13], v[38:39], -v[42:43]
	v_fma_f64 v[6:7], v[6:7], -0.5, v[14:15]
	v_add_f64_e32 v[22:23], v[8:9], v[22:23]
	v_add_f64_e32 v[24:25], v[24:25], v[16:17]
	;; [unrolled: 1-line block ×3, first 2 shown]
	v_fma_f64 v[34:35], v[10:11], s[6:7], v[0:1]
	v_fma_f64 v[36:37], v[10:11], s[2:3], v[0:1]
	;; [unrolled: 1-line block ×6, first 2 shown]
	ds_load_2addr_b64 v[0:3], v72 offset0:9 offset1:18
	ds_load_2addr_b64 v[6:9], v72 offset0:27 offset1:36
	;; [unrolled: 1-line block ×4, first 2 shown]
	ds_load_b64 v[18:19], v73
	ds_load_b64 v[20:21], v72 offset:648
	global_wb scope:SCOPE_SE
	s_wait_dscnt 0x0
	s_barrier_signal -1
	s_barrier_wait -1
	global_inv scope:SCOPE_SE
	ds_store_2addr_b64 v51, v[22:23], v[34:35] offset1:3
	ds_store_b64 v51, v[36:37] offset:48
	ds_store_2addr_b64 v52, v[24:25], v[38:39] offset1:3
	ds_store_b64 v52, v[26:27] offset:48
	;; [unrolled: 2-line block ×3, first 2 shown]
	s_and_saveexec_b32 s1, s0
	s_cbranch_execz .LBB0_24
; %bb.23:
	v_add_f64_e32 v[22:23], v[40:41], v[32:33]
	v_add_f64_e64 v[24:25], v[48:49], -v[28:29]
	s_mov_b32 s3, 0x3febb67a
	s_mov_b32 s2, 0xe8584caa
	s_delay_alu instid0(VALU_DEP_2) | instskip(SKIP_2) | instid1(VALU_DEP_2)
	v_fma_f64 v[22:23], v[22:23], -0.5, v[4:5]
	v_add_f64_e32 v[4:5], v[4:5], v[40:41]
	s_wait_alu 0xfffe
	v_fma_f64 v[26:27], v[24:25], s[2:3], v[22:23]
	s_mov_b32 s3, 0xbfebb67a
	s_delay_alu instid0(VALU_DEP_2)
	v_add_f64_e32 v[4:5], v[4:5], v[32:33]
	s_wait_alu 0xfffe
	v_fma_f64 v[22:23], v[24:25], s[2:3], v[22:23]
	v_add3_u32 v24, 0, v50, v74
	ds_store_2addr_b64 v24, v[4:5], v[26:27] offset0:81 offset1:84
	ds_store_b64 v24, v[22:23] offset:696
.LBB0_24:
	s_wait_alu 0xfffe
	s_or_b32 exec_lo, exec_lo, s1
	global_wb scope:SCOPE_SE
	s_wait_dscnt 0x0
	s_barrier_signal -1
	s_barrier_wait -1
	global_inv scope:SCOPE_SE
	s_and_saveexec_b32 s0, vcc_lo
	s_cbranch_execz .LBB0_26
; %bb.25:
	v_mul_u32_u24_e32 v4, 9, v71
	s_mov_b32 s2, 0x134454ff
	s_mov_b32 s3, 0xbfee6f0e
	;; [unrolled: 1-line block ×3, first 2 shown]
	s_wait_alu 0xfffe
	s_mov_b32 s0, s2
	v_lshlrev_b32_e32 v4, 4, v4
	s_mov_b32 s6, 0x4755a5e
	s_mov_b32 s7, 0xbfe2cf23
	;; [unrolled: 1-line block ×4, first 2 shown]
	s_clause 0x8
	global_load_b128 v[22:25], v4, s[4:5] offset:128
	global_load_b128 v[26:29], v4, s[4:5] offset:160
	;; [unrolled: 1-line block ×9, first 2 shown]
	ds_load_2addr_b64 v[58:61], v72 offset0:27 offset1:36
	ds_load_2addr_b64 v[62:65], v72 offset0:45 offset1:54
	;; [unrolled: 1-line block ×3, first 2 shown]
	ds_load_b64 v[82:83], v72 offset:648
	ds_load_b64 v[84:85], v73
	s_mov_b32 s5, 0x3fe2cf23
	s_wait_alu 0xfffe
	s_mov_b32 s4, s6
	s_mov_b32 s12, 0x9b97f4a8
	;; [unrolled: 1-line block ×7, first 2 shown]
	s_wait_loadcnt 0x8
	v_mul_f64_e32 v[4:5], v[6:7], v[24:25]
	s_wait_loadcnt 0x7
	v_mul_f64_e32 v[66:67], v[10:11], v[28:29]
	;; [unrolled: 2-line block ×4, first 2 shown]
	v_mul_f64_e32 v[86:87], v[6:7], v[22:23]
	v_mul_f64_e32 v[20:21], v[20:21], v[34:35]
	;; [unrolled: 1-line block ×4, first 2 shown]
	s_wait_loadcnt 0x4
	v_mul_f64_e32 v[88:89], v[0:1], v[40:41]
	v_mul_f64_e32 v[0:1], v[0:1], v[38:39]
	s_wait_dscnt 0x4
	v_fma_f64 v[22:23], v[58:59], v[22:23], -v[4:5]
	s_wait_dscnt 0x3
	v_fma_f64 v[26:27], v[62:63], v[26:27], -v[66:67]
	s_wait_dscnt 0x2
	v_fma_f64 v[30:31], v[74:75], v[30:31], -v[78:79]
	s_wait_dscnt 0x1
	v_fma_f64 v[34:35], v[82:83], v[34:35], -v[80:81]
	ds_load_2addr_b64 v[4:7], v72 offset0:9 offset1:18
	s_wait_loadcnt 0x3
	v_mul_f64_e32 v[66:67], v[8:9], v[44:45]
	s_wait_loadcnt 0x2
	v_mul_f64_e32 v[71:72], v[12:13], v[48:49]
	v_mul_f64_e32 v[44:45], v[60:61], v[44:45]
	s_wait_loadcnt 0x0
	v_mul_f64_e32 v[80:81], v[16:17], v[56:57]
	v_mul_f64_e32 v[48:49], v[64:65], v[48:49]
	;; [unrolled: 1-line block ×3, first 2 shown]
	v_fma_f64 v[24:25], v[58:59], v[24:25], v[86:87]
	v_fma_f64 v[10:11], v[62:63], v[28:29], v[10:11]
	;; [unrolled: 1-line block ×4, first 2 shown]
	s_wait_dscnt 0x0
	v_mul_f64_e32 v[78:79], v[6:7], v[52:53]
	v_mul_f64_e32 v[52:53], v[2:3], v[52:53]
	v_fma_f64 v[28:29], v[4:5], v[38:39], -v[88:89]
	v_fma_f64 v[0:1], v[4:5], v[40:41], v[0:1]
	v_add_f64_e32 v[32:33], v[26:27], v[30:31]
	v_add_f64_e32 v[36:37], v[22:23], v[34:35]
	v_fma_f64 v[38:39], v[60:61], v[42:43], -v[66:67]
	v_fma_f64 v[58:59], v[64:65], v[46:47], -v[71:72]
	v_fma_f64 v[8:9], v[8:9], v[42:43], v[44:45]
	v_add_f64_e64 v[60:61], v[30:31], -v[34:35]
	v_fma_f64 v[12:13], v[12:13], v[46:47], v[48:49]
	v_fma_f64 v[16:17], v[16:17], v[54:55], v[56:57]
	v_add_f64_e64 v[46:47], v[22:23], -v[26:27]
	v_add_f64_e64 v[48:49], v[34:35], -v[30:31]
	v_add_f64_e32 v[4:5], v[10:11], v[14:15]
	v_add_f64_e32 v[40:41], v[24:25], v[20:21]
	v_add_f64_e64 v[42:43], v[10:11], -v[14:15]
	v_add_f64_e64 v[44:45], v[24:25], -v[20:21]
	;; [unrolled: 1-line block ×6, first 2 shown]
	v_fma_f64 v[2:3], v[2:3], v[50:51], v[78:79]
	v_fma_f64 v[6:7], v[6:7], v[50:51], -v[52:53]
	v_fma_f64 v[52:53], v[76:77], v[54:55], -v[80:81]
	v_add_f64_e64 v[77:78], v[24:25], -v[10:11]
	v_add_f64_e64 v[81:82], v[10:11], -v[24:25]
	v_add_f64_e32 v[22:23], v[22:23], v[28:29]
	v_add_f64_e64 v[79:80], v[20:21], -v[14:15]
	v_fma_f64 v[32:33], v[32:33], -0.5, v[28:29]
	v_fma_f64 v[36:37], v[36:37], -0.5, v[28:29]
	v_add_f64_e32 v[50:51], v[38:39], v[58:59]
	v_add_f64_e64 v[94:95], v[38:39], -v[58:59]
	v_add_f64_e32 v[62:63], v[8:9], v[12:13]
	v_add_f64_e64 v[90:91], v[8:9], -v[12:13]
	v_add_f64_e64 v[96:97], v[16:17], -v[12:13]
	v_add_f64_e32 v[46:47], v[46:47], v[48:49]
	v_fma_f64 v[4:5], v[4:5], -0.5, v[0:1]
	v_fma_f64 v[40:41], v[40:41], -0.5, v[0:1]
	v_add_f64_e32 v[0:1], v[24:25], v[0:1]
	v_add_f64_e64 v[98:99], v[12:13], -v[16:17]
	v_add_f64_e32 v[48:49], v[56:57], v[60:61]
	v_add_f64_e32 v[64:65], v[2:3], v[16:17]
	;; [unrolled: 1-line block ×5, first 2 shown]
	v_add_f64_e64 v[88:89], v[2:3], -v[16:17]
	v_add_f64_e64 v[92:93], v[6:7], -v[52:53]
	v_add_f64_e32 v[22:23], v[26:27], v[22:23]
	v_add_f64_e32 v[77:78], v[77:78], v[79:80]
	v_add_f64_e32 v[79:80], v[81:82], v[86:87]
	v_fma_f64 v[73:74], v[44:45], s[2:3], v[32:33]
	v_fma_f64 v[75:76], v[42:43], s[0:1], v[36:37]
	;; [unrolled: 1-line block ×4, first 2 shown]
	v_fma_f64 v[50:51], v[50:51], -0.5, v[84:85]
	v_fma_f64 v[56:57], v[62:63], -0.5, v[18:19]
	v_fma_f64 v[60:61], v[71:72], s[0:1], v[4:5]
	v_fma_f64 v[62:63], v[66:67], s[2:3], v[40:41]
	;; [unrolled: 1-line block ×4, first 2 shown]
	v_add_f64_e32 v[0:1], v[10:11], v[0:1]
	v_fma_f64 v[18:19], v[64:65], -0.5, v[18:19]
	v_fma_f64 v[54:55], v[54:55], -0.5, v[84:85]
	v_add_f64_e64 v[83:84], v[2:3], -v[8:9]
	v_add_f64_e64 v[2:3], v[8:9], -v[2:3]
	v_add_f64_e32 v[28:29], v[38:39], v[28:29]
	v_add_f64_e32 v[8:9], v[24:25], v[8:9]
	;; [unrolled: 1-line block ×3, first 2 shown]
	v_fma_f64 v[64:65], v[42:43], s[6:7], v[73:74]
	v_fma_f64 v[73:74], v[44:45], s[6:7], v[75:76]
	;; [unrolled: 1-line block ×4, first 2 shown]
	v_add_f64_e64 v[42:43], v[6:7], -v[38:39]
	v_add_f64_e64 v[44:45], v[52:53], -v[58:59]
	v_add_f64_e64 v[6:7], v[38:39], -v[6:7]
	v_add_f64_e64 v[75:76], v[58:59], -v[52:53]
	v_fma_f64 v[10:11], v[88:89], s[2:3], v[50:51]
	v_fma_f64 v[38:39], v[88:89], s[0:1], v[50:51]
	;; [unrolled: 1-line block ×7, first 2 shown]
	v_add_f64_e32 v[0:1], v[14:15], v[0:1]
	v_fma_f64 v[24:25], v[90:91], s[0:1], v[54:55]
	v_fma_f64 v[26:27], v[90:91], s[2:3], v[54:55]
	;; [unrolled: 1-line block ×4, first 2 shown]
	v_add_f64_e32 v[28:29], v[58:59], v[28:29]
	v_add_f64_e32 v[8:9], v[8:9], v[12:13]
	;; [unrolled: 1-line block ×4, first 2 shown]
	v_fma_f64 v[64:65], v[46:47], s[10:11], v[64:65]
	v_fma_f64 v[71:72], v[48:49], s[10:11], v[73:74]
	;; [unrolled: 1-line block ×5, first 2 shown]
	v_add_f64_e32 v[42:43], v[42:43], v[44:45]
	v_add_f64_e32 v[44:45], v[83:84], v[96:97]
	v_add_f64_e32 v[6:7], v[6:7], v[75:76]
	v_fma_f64 v[10:11], v[90:91], s[6:7], v[10:11]
	v_fma_f64 v[46:47], v[79:80], s[10:11], v[62:63]
	;; [unrolled: 1-line block ×11, first 2 shown]
	v_add_f64_e32 v[28:29], v[52:53], v[28:29]
	v_add_f64_e32 v[8:9], v[16:17], v[8:9]
	;; [unrolled: 1-line block ×3, first 2 shown]
	v_mul_f64_e32 v[50:51], s[12:13], v[64:65]
	s_wait_alu 0xfffe
	v_mul_f64_e32 v[54:55], s[14:15], v[71:72]
	v_mul_f64_e32 v[56:57], s[10:11], v[36:37]
	v_fma_f64 v[48:49], v[94:95], s[6:7], v[48:49]
	v_mul_f64_e32 v[58:59], s[16:17], v[32:33]
	v_mul_f64_e32 v[32:33], s[6:7], v[32:33]
	;; [unrolled: 1-line block ×4, first 2 shown]
	v_mov_b32_e32 v71, 0
	v_mul_f64_e32 v[62:63], s[6:7], v[64:65]
	v_fma_f64 v[20:21], v[42:43], s[10:11], v[10:11]
	v_fma_f64 v[12:13], v[6:7], s[10:11], v[12:13]
	;; [unrolled: 1-line block ×5, first 2 shown]
	v_add_f64_e32 v[6:7], v[28:29], v[22:23]
	v_add_f64_e64 v[0:1], v[8:9], -v[16:17]
	v_fma_f64 v[24:25], v[38:39], s[4:5], v[50:51]
	v_fma_f64 v[26:27], v[46:47], s[0:1], v[54:55]
	;; [unrolled: 1-line block ×11, first 2 shown]
	v_add_f64_e32 v[4:5], v[8:9], v[16:17]
	v_add_f64_e64 v[2:3], v[28:29], -v[22:23]
	v_add_f64_e64 v[10:11], v[20:21], -v[24:25]
	;; [unrolled: 1-line block ×4, first 2 shown]
	v_add_f64_e32 v[30:31], v[34:35], v[50:51]
	v_add_f64_e32 v[34:35], v[42:43], v[48:49]
	;; [unrolled: 1-line block ×8, first 2 shown]
	v_add_f64_e64 v[38:39], v[42:43], -v[48:49]
	v_add_f64_e64 v[36:37], v[44:45], -v[58:59]
	;; [unrolled: 1-line block ×5, first 2 shown]
	v_lshlrev_b64_e32 v[40:41], 4, v[70:71]
	v_add_co_u32 v42, vcc_lo, s8, v68
	s_wait_alu 0xfffd
	v_add_co_ci_u32_e32 v43, vcc_lo, s9, v69, vcc_lo
	s_delay_alu instid0(VALU_DEP_2) | instskip(SKIP_1) | instid1(VALU_DEP_2)
	v_add_co_u32 v40, vcc_lo, v42, v40
	s_wait_alu 0xfffd
	v_add_co_ci_u32_e32 v41, vcc_lo, v43, v41, vcc_lo
	s_clause 0x9
	global_store_b128 v[40:41], v[4:7], off
	global_store_b128 v[40:41], v[32:35], off offset:144
	global_store_b128 v[40:41], v[28:31], off offset:288
	;; [unrolled: 1-line block ×9, first 2 shown]
.LBB0_26:
	s_nop 0
	s_sendmsg sendmsg(MSG_DEALLOC_VGPRS)
	s_endpgm
	.section	.rodata,"a",@progbits
	.p2align	6, 0x0
	.amdhsa_kernel fft_rtc_back_len90_factors_3_3_10_wgs_63_tpt_9_halfLds_dp_ip_CI_unitstride_sbrr_dirReg
		.amdhsa_group_segment_fixed_size 0
		.amdhsa_private_segment_fixed_size 0
		.amdhsa_kernarg_size 88
		.amdhsa_user_sgpr_count 2
		.amdhsa_user_sgpr_dispatch_ptr 0
		.amdhsa_user_sgpr_queue_ptr 0
		.amdhsa_user_sgpr_kernarg_segment_ptr 1
		.amdhsa_user_sgpr_dispatch_id 0
		.amdhsa_user_sgpr_private_segment_size 0
		.amdhsa_wavefront_size32 1
		.amdhsa_uses_dynamic_stack 0
		.amdhsa_enable_private_segment 0
		.amdhsa_system_sgpr_workgroup_id_x 1
		.amdhsa_system_sgpr_workgroup_id_y 0
		.amdhsa_system_sgpr_workgroup_id_z 0
		.amdhsa_system_sgpr_workgroup_info 0
		.amdhsa_system_vgpr_workitem_id 0
		.amdhsa_next_free_vgpr 101
		.amdhsa_next_free_sgpr 32
		.amdhsa_reserve_vcc 1
		.amdhsa_float_round_mode_32 0
		.amdhsa_float_round_mode_16_64 0
		.amdhsa_float_denorm_mode_32 3
		.amdhsa_float_denorm_mode_16_64 3
		.amdhsa_fp16_overflow 0
		.amdhsa_workgroup_processor_mode 1
		.amdhsa_memory_ordered 1
		.amdhsa_forward_progress 0
		.amdhsa_round_robin_scheduling 0
		.amdhsa_exception_fp_ieee_invalid_op 0
		.amdhsa_exception_fp_denorm_src 0
		.amdhsa_exception_fp_ieee_div_zero 0
		.amdhsa_exception_fp_ieee_overflow 0
		.amdhsa_exception_fp_ieee_underflow 0
		.amdhsa_exception_fp_ieee_inexact 0
		.amdhsa_exception_int_div_zero 0
	.end_amdhsa_kernel
	.text
.Lfunc_end0:
	.size	fft_rtc_back_len90_factors_3_3_10_wgs_63_tpt_9_halfLds_dp_ip_CI_unitstride_sbrr_dirReg, .Lfunc_end0-fft_rtc_back_len90_factors_3_3_10_wgs_63_tpt_9_halfLds_dp_ip_CI_unitstride_sbrr_dirReg
                                        ; -- End function
	.section	.AMDGPU.csdata,"",@progbits
; Kernel info:
; codeLenInByte = 5772
; NumSgprs: 34
; NumVgprs: 101
; ScratchSize: 0
; MemoryBound: 1
; FloatMode: 240
; IeeeMode: 1
; LDSByteSize: 0 bytes/workgroup (compile time only)
; SGPRBlocks: 4
; VGPRBlocks: 12
; NumSGPRsForWavesPerEU: 34
; NumVGPRsForWavesPerEU: 101
; Occupancy: 12
; WaveLimiterHint : 1
; COMPUTE_PGM_RSRC2:SCRATCH_EN: 0
; COMPUTE_PGM_RSRC2:USER_SGPR: 2
; COMPUTE_PGM_RSRC2:TRAP_HANDLER: 0
; COMPUTE_PGM_RSRC2:TGID_X_EN: 1
; COMPUTE_PGM_RSRC2:TGID_Y_EN: 0
; COMPUTE_PGM_RSRC2:TGID_Z_EN: 0
; COMPUTE_PGM_RSRC2:TIDIG_COMP_CNT: 0
	.text
	.p2alignl 7, 3214868480
	.fill 96, 4, 3214868480
	.type	__hip_cuid_22ec22bef880b26,@object ; @__hip_cuid_22ec22bef880b26
	.section	.bss,"aw",@nobits
	.globl	__hip_cuid_22ec22bef880b26
__hip_cuid_22ec22bef880b26:
	.byte	0                               ; 0x0
	.size	__hip_cuid_22ec22bef880b26, 1

	.ident	"AMD clang version 19.0.0git (https://github.com/RadeonOpenCompute/llvm-project roc-6.4.0 25133 c7fe45cf4b819c5991fe208aaa96edf142730f1d)"
	.section	".note.GNU-stack","",@progbits
	.addrsig
	.addrsig_sym __hip_cuid_22ec22bef880b26
	.amdgpu_metadata
---
amdhsa.kernels:
  - .args:
      - .actual_access:  read_only
        .address_space:  global
        .offset:         0
        .size:           8
        .value_kind:     global_buffer
      - .offset:         8
        .size:           8
        .value_kind:     by_value
      - .actual_access:  read_only
        .address_space:  global
        .offset:         16
        .size:           8
        .value_kind:     global_buffer
      - .actual_access:  read_only
        .address_space:  global
        .offset:         24
        .size:           8
        .value_kind:     global_buffer
      - .offset:         32
        .size:           8
        .value_kind:     by_value
      - .actual_access:  read_only
        .address_space:  global
        .offset:         40
        .size:           8
        .value_kind:     global_buffer
      - .actual_access:  read_only
        .address_space:  global
        .offset:         48
        .size:           8
        .value_kind:     global_buffer
      - .offset:         56
        .size:           4
        .value_kind:     by_value
      - .actual_access:  read_only
        .address_space:  global
        .offset:         64
        .size:           8
        .value_kind:     global_buffer
      - .actual_access:  read_only
        .address_space:  global
        .offset:         72
        .size:           8
        .value_kind:     global_buffer
      - .address_space:  global
        .offset:         80
        .size:           8
        .value_kind:     global_buffer
    .group_segment_fixed_size: 0
    .kernarg_segment_align: 8
    .kernarg_segment_size: 88
    .language:       OpenCL C
    .language_version:
      - 2
      - 0
    .max_flat_workgroup_size: 63
    .name:           fft_rtc_back_len90_factors_3_3_10_wgs_63_tpt_9_halfLds_dp_ip_CI_unitstride_sbrr_dirReg
    .private_segment_fixed_size: 0
    .sgpr_count:     34
    .sgpr_spill_count: 0
    .symbol:         fft_rtc_back_len90_factors_3_3_10_wgs_63_tpt_9_halfLds_dp_ip_CI_unitstride_sbrr_dirReg.kd
    .uniform_work_group_size: 1
    .uses_dynamic_stack: false
    .vgpr_count:     101
    .vgpr_spill_count: 0
    .wavefront_size: 32
    .workgroup_processor_mode: 1
amdhsa.target:   amdgcn-amd-amdhsa--gfx1201
amdhsa.version:
  - 1
  - 2
...

	.end_amdgpu_metadata
